;; amdgpu-corpus repo=ROCm/rocFFT kind=compiled arch=gfx906 opt=O3
	.text
	.amdgcn_target "amdgcn-amd-amdhsa--gfx906"
	.amdhsa_code_object_version 6
	.protected	bluestein_single_fwd_len4096_dim1_sp_op_CI_CI ; -- Begin function bluestein_single_fwd_len4096_dim1_sp_op_CI_CI
	.globl	bluestein_single_fwd_len4096_dim1_sp_op_CI_CI
	.p2align	8
	.type	bluestein_single_fwd_len4096_dim1_sp_op_CI_CI,@function
bluestein_single_fwd_len4096_dim1_sp_op_CI_CI: ; @bluestein_single_fwd_len4096_dim1_sp_op_CI_CI
; %bb.0:
	s_load_dwordx4 s[12:15], s[4:5], 0x28
	s_mov_b32 s7, 0
	s_waitcnt lgkmcnt(0)
	v_mov_b32_e32 v1, s12
	v_mov_b32_e32 v2, s13
	v_cmp_lt_u64_e32 vcc, s[6:7], v[1:2]
	s_and_saveexec_b64 s[0:1], vcc
	s_cbranch_execz .LBB0_2
; %bb.1:
	s_load_dwordx4 s[0:3], s[4:5], 0x18
	s_load_dwordx4 s[8:11], s[4:5], 0x0
	v_mov_b32_e32 v90, s7
	v_mov_b32_e32 v89, s6
	;; [unrolled: 1-line block ×3, first 2 shown]
	s_waitcnt lgkmcnt(0)
	s_load_dwordx4 s[16:19], s[0:1], 0x0
	s_add_u32 s6, s8, 0x8000
	s_addc_u32 s7, s9, 0
	v_lshlrev_b32_e32 v97, 3, v0
	v_or_b32_e32 v94, 0x1000, v97
	s_waitcnt lgkmcnt(0)
	v_mad_u64_u32 v[1:2], s[0:1], s18, v89, 0
	v_mad_u64_u32 v[3:4], s[0:1], s16, v0, 0
	v_or_b32_e32 v95, 0x1800, v97
	v_or_b32_e32 v96, 0x2000, v97
	v_mad_u64_u32 v[5:6], s[0:1], s19, v89, v[2:3]
	v_or_b32_e32 v101, 0x2800, v97
	v_or_b32_e32 v103, 0x3000, v97
	v_mad_u64_u32 v[6:7], s[0:1], s17, v0, v[4:5]
	v_mov_b32_e32 v2, v5
	v_lshlrev_b64 v[1:2], 3, v[1:2]
	v_mov_b32_e32 v4, v6
	v_add_co_u32_e32 v5, vcc, s14, v1
	v_addc_co_u32_e32 v6, vcc, v8, v2, vcc
	v_lshlrev_b64 v[1:2], 3, v[3:4]
	s_lshl_b64 s[0:1], s[16:17], 11
	v_add_co_u32_e32 v1, vcc, v5, v1
	v_addc_co_u32_e32 v2, vcc, v6, v2, vcc
	global_load_dwordx2 v[3:4], v[1:2], off
	v_mov_b32_e32 v33, s1
	v_add_co_u32_e32 v1, vcc, s0, v1
	v_addc_co_u32_e32 v2, vcc, v2, v33, vcc
	v_add_co_u32_e32 v5, vcc, s0, v1
	v_addc_co_u32_e32 v6, vcc, v2, v33, vcc
	global_load_dwordx2 v[87:88], v97, s[8:9]
	global_load_dwordx2 v[85:86], v97, s[8:9] offset:2048
	global_load_dwordx2 v[7:8], v[1:2], off
	global_load_dwordx2 v[9:10], v[5:6], off
	v_add_co_u32_e32 v1, vcc, s0, v5
	v_addc_co_u32_e32 v2, vcc, v6, v33, vcc
	global_load_dwordx2 v[5:6], v[1:2], off
	v_add_co_u32_e32 v1, vcc, s0, v1
	v_addc_co_u32_e32 v2, vcc, v2, v33, vcc
	;; [unrolled: 3-line block ×6, first 2 shown]
	global_load_dwordx2 v[19:20], v[1:2], off
	v_add_co_u32_e32 v1, vcc, s0, v1
	global_load_dwordx2 v[81:82], v94, s[8:9]
	global_load_dwordx2 v[83:84], v95, s[8:9]
	;; [unrolled: 1-line block ×3, first 2 shown]
	v_addc_co_u32_e32 v2, vcc, v2, v33, vcc
	global_load_dwordx2 v[21:22], v[1:2], off
	v_add_co_u32_e32 v1, vcc, s0, v1
	v_addc_co_u32_e32 v2, vcc, v2, v33, vcc
	global_load_dwordx2 v[79:80], v101, s[8:9]
	global_load_dwordx2 v[23:24], v[1:2], off
	v_add_co_u32_e32 v1, vcc, s0, v1
	v_or_b32_e32 v104, 0x3800, v97
	v_addc_co_u32_e32 v2, vcc, v2, v33, vcc
	global_load_dwordx2 v[73:74], v103, s[8:9]
	global_load_dwordx2 v[75:76], v104, s[8:9]
	global_load_dwordx2 v[25:26], v[1:2], off
	v_add_co_u32_e32 v1, vcc, s0, v1
	v_or_b32_e32 v100, 0x4000, v97
	v_or_b32_e32 v102, 0x4800, v97
	v_addc_co_u32_e32 v2, vcc, v2, v33, vcc
	global_load_dwordx2 v[69:70], v100, s[8:9]
	global_load_dwordx2 v[71:72], v102, s[8:9]
	global_load_dwordx2 v[27:28], v[1:2], off
	v_add_co_u32_e32 v1, vcc, s0, v1
	v_or_b32_e32 v105, 0x5000, v97
	;; [unrolled: 7-line block ×3, first 2 shown]
	global_load_dwordx2 v[61:62], v107, s[8:9]
	v_or_b32_e32 v108, 0x6800, v97
	global_load_dwordx2 v[63:64], v108, s[8:9]
	v_addc_co_u32_e32 v2, vcc, v2, v33, vcc
	global_load_dwordx2 v[31:32], v[1:2], off
	v_add_co_u32_e32 v1, vcc, s0, v1
	v_or_b32_e32 v109, 0x7000, v97
	v_addc_co_u32_e32 v2, vcc, v2, v33, vcc
	v_or_b32_e32 v110, 0x7800, v97
	global_load_dwordx2 v[57:58], v109, s[8:9]
	global_load_dwordx2 v[59:60], v110, s[8:9]
	s_waitcnt vmcnt(29)
	v_mul_f32_e32 v33, v4, v88
	global_load_dwordx2 v[1:2], v[1:2], off
	v_fmac_f32_e32 v33, v3, v87
	v_mul_f32_e32 v3, v3, v88
	v_fma_f32 v34, v4, v87, -v3
	s_waitcnt vmcnt(28)
	v_mul_f32_e32 v3, v8, v86
	v_mul_f32_e32 v4, v7, v86
	v_fmac_f32_e32 v3, v7, v85
	v_fma_f32 v4, v8, v85, -v4
	ds_write2st64_b64 v97, v[33:34], v[3:4] offset1:4
	s_load_dwordx4 s[0:3], s[2:3], 0x0
	v_lshlrev_b32_e32 v98, 7, v0
	v_mov_b32_e32 v93, s11
	s_movk_i32 s8, 0x78
	v_mov_b32_e32 v92, s10
	s_waitcnt vmcnt(20)
	v_mul_f32_e32 v3, v10, v82
	s_waitcnt vmcnt(19)
	v_mul_f32_e32 v7, v6, v84
	v_mul_f32_e32 v4, v9, v82
	v_fmac_f32_e32 v7, v5, v83
	v_mul_f32_e32 v5, v5, v84
	v_fmac_f32_e32 v3, v9, v81
	v_fma_f32 v4, v10, v81, -v4
	v_fma_f32 v8, v6, v83, -v5
	ds_write2st64_b64 v97, v[3:4], v[7:8] offset0:8 offset1:12
	s_waitcnt vmcnt(18)
	v_mul_f32_e32 v3, v12, v78
	v_mul_f32_e32 v4, v11, v78
	s_waitcnt vmcnt(16)
	v_mul_f32_e32 v5, v14, v80
	v_mul_f32_e32 v6, v13, v80
	v_fmac_f32_e32 v3, v11, v77
	v_fma_f32 v4, v12, v77, -v4
	v_fmac_f32_e32 v5, v13, v79
	v_fma_f32 v6, v14, v79, -v6
	ds_write2st64_b64 v97, v[3:4], v[5:6] offset0:16 offset1:20
	s_waitcnt vmcnt(14)
	v_mul_f32_e32 v3, v16, v74
	v_mul_f32_e32 v4, v15, v74
	s_waitcnt vmcnt(13)
	v_mul_f32_e32 v5, v18, v76
	v_mul_f32_e32 v6, v17, v76
	v_fmac_f32_e32 v3, v15, v73
	v_fma_f32 v4, v16, v73, -v4
	v_fmac_f32_e32 v5, v17, v75
	;; [unrolled: 11-line block ×5, first 2 shown]
	v_fma_f32 v6, v30, v63, -v6
	ds_write2st64_b64 v97, v[3:4], v[5:6] offset0:48 offset1:52
	s_waitcnt vmcnt(2)
	v_mul_f32_e32 v3, v32, v58
	v_mul_f32_e32 v4, v31, v58
	s_waitcnt vmcnt(0)
	v_mul_f32_e32 v5, v2, v60
	v_fmac_f32_e32 v5, v1, v59
	v_mul_f32_e32 v1, v1, v60
	v_fmac_f32_e32 v3, v31, v57
	v_fma_f32 v4, v32, v57, -v4
	v_fma_f32 v6, v2, v59, -v1
	ds_write2st64_b64 v97, v[3:4], v[5:6] offset0:56 offset1:60
	s_waitcnt lgkmcnt(0)
	s_barrier
	ds_read2st64_b64 v[1:4], v97 offset1:4
	ds_read2st64_b64 v[5:8], v97 offset0:8 offset1:12
	ds_read2st64_b64 v[9:12], v97 offset0:16 offset1:20
	;; [unrolled: 1-line block ×7, first 2 shown]
	s_waitcnt lgkmcnt(4)
	v_sub_f32_e32 v13, v1, v13
	v_sub_f32_e32 v14, v2, v14
	s_waitcnt lgkmcnt(2)
	v_sub_f32_e32 v21, v5, v21
	s_waitcnt lgkmcnt(1)
	v_sub_f32_e32 v25, v9, v25
	v_sub_f32_e32 v26, v10, v26
	v_fma_f32 v9, v9, 2.0, -v25
	v_fma_f32 v10, v10, 2.0, -v26
	v_sub_f32_e32 v22, v6, v22
	s_waitcnt lgkmcnt(0)
	v_sub_f32_e32 v29, v17, v29
	v_sub_f32_e32 v30, v18, v30
	;; [unrolled: 1-line block ×7, first 2 shown]
	v_add_f32_e32 v25, v14, v25
	v_fma_f32 v1, v1, 2.0, -v13
	v_fma_f32 v2, v2, 2.0, -v14
	;; [unrolled: 1-line block ×6, first 2 shown]
	v_sub_f32_e32 v23, v7, v23
	v_sub_f32_e32 v24, v8, v24
	;; [unrolled: 1-line block ×4, first 2 shown]
	v_fma_f32 v13, v13, 2.0, -v26
	v_fma_f32 v14, v14, 2.0, -v25
	v_sub_f32_e32 v30, v21, v30
	v_add_f32_e32 v29, v22, v29
	v_sub_f32_e32 v28, v15, v28
	v_add_f32_e32 v27, v16, v27
	v_mov_b32_e32 v39, v26
	v_mov_b32_e32 v40, v25
	v_fma_f32 v5, v5, 2.0, -v21
	v_fma_f32 v6, v6, 2.0, -v22
	v_fma_f32 v3, v3, 2.0, -v15
	v_fma_f32 v4, v4, 2.0, -v16
	v_fma_f32 v7, v7, 2.0, -v23
	v_fma_f32 v8, v8, 2.0, -v24
	v_fma_f32 v19, v19, 2.0, -v31
	v_fma_f32 v20, v20, 2.0, -v32
	v_fma_f32 v21, v21, 2.0, -v30
	v_fma_f32 v22, v22, 2.0, -v29
	v_fma_f32 v15, v15, 2.0, -v28
	v_fma_f32 v16, v16, 2.0, -v27
	v_sub_f32_e32 v32, v23, v32
	v_add_f32_e32 v31, v24, v31
	v_mov_b32_e32 v35, v13
	v_mov_b32_e32 v36, v14
	v_fmac_f32_e32 v39, 0x3f3504f3, v30
	v_fmac_f32_e32 v40, 0x3f3504f3, v29
	v_sub_f32_e32 v9, v1, v9
	v_sub_f32_e32 v10, v2, v10
	v_sub_f32_e32 v17, v5, v17
	v_sub_f32_e32 v18, v6, v18
	v_sub_f32_e32 v11, v3, v11
	v_sub_f32_e32 v12, v4, v12
	v_sub_f32_e32 v19, v7, v19
	v_sub_f32_e32 v20, v8, v20
	v_fma_f32 v23, v23, 2.0, -v32
	v_fma_f32 v24, v24, 2.0, -v31
	v_fmac_f32_e32 v35, 0xbf3504f3, v21
	v_fmac_f32_e32 v36, 0xbf3504f3, v22
	;; [unrolled: 1-line block ×4, first 2 shown]
	v_mov_b32_e32 v29, v15
	v_mov_b32_e32 v30, v16
	v_fma_f32 v1, v1, 2.0, -v9
	v_fma_f32 v2, v2, 2.0, -v10
	;; [unrolled: 1-line block ×8, first 2 shown]
	v_fmac_f32_e32 v35, 0xbf3504f3, v22
	v_fmac_f32_e32 v36, 0x3f3504f3, v21
	v_sub_f32_e32 v37, v9, v18
	v_add_f32_e32 v38, v10, v17
	v_fmac_f32_e32 v29, 0xbf3504f3, v23
	v_fmac_f32_e32 v30, 0xbf3504f3, v24
	v_sub_f32_e32 v33, v1, v5
	v_sub_f32_e32 v34, v2, v6
	v_fma_f32 v13, v13, 2.0, -v35
	v_fma_f32 v14, v14, 2.0, -v36
	;; [unrolled: 1-line block ×6, first 2 shown]
	v_sub_f32_e32 v25, v3, v7
	v_sub_f32_e32 v26, v4, v8
	v_fmac_f32_e32 v29, 0xbf3504f3, v24
	v_fmac_f32_e32 v30, 0x3f3504f3, v23
	v_sub_f32_e32 v41, v11, v20
	v_add_f32_e32 v42, v12, v19
	v_fma_f32 v5, v1, 2.0, -v33
	v_fma_f32 v6, v2, 2.0, -v34
	;; [unrolled: 1-line block ×8, first 2 shown]
	v_mov_b32_e32 v43, v28
	v_mov_b32_e32 v44, v27
	;; [unrolled: 1-line block ×6, first 2 shown]
	v_fmac_f32_e32 v43, 0x3f3504f3, v32
	v_fmac_f32_e32 v44, 0x3f3504f3, v31
	v_fmac_f32_e32 v3, 0xbf6c835e, v7
	v_fmac_f32_e32 v4, 0xbf6c835e, v8
	v_fmac_f32_e32 v9, 0xbf3504f3, v11
	v_fmac_f32_e32 v10, 0xbf3504f3, v12
	v_fmac_f32_e32 v43, 0xbf3504f3, v31
	v_fmac_f32_e32 v44, 0x3f3504f3, v32
	v_fmac_f32_e32 v3, 0xbec3ef15, v8
	v_fmac_f32_e32 v4, 0x3ec3ef15, v7
	v_fmac_f32_e32 v9, 0xbf3504f3, v12
	v_fmac_f32_e32 v10, 0x3f3504f3, v11
	v_fma_f32 v15, v28, 2.0, -v43
	v_fma_f32 v16, v27, 2.0, -v44
	;; [unrolled: 1-line block ×6, first 2 shown]
	v_mov_b32_e32 v11, v21
	v_mov_b32_e32 v12, v22
	v_sub_f32_e32 v17, v33, v26
	v_add_f32_e32 v18, v34, v25
	v_mov_b32_e32 v19, v35
	v_mov_b32_e32 v20, v36
	;; [unrolled: 1-line block ×6, first 2 shown]
	v_sub_f32_e32 v1, v5, v1
	v_sub_f32_e32 v2, v6, v2
	v_fmac_f32_e32 v11, 0xbec3ef15, v15
	v_fmac_f32_e32 v12, 0xbec3ef15, v16
	;; [unrolled: 1-line block ×8, first 2 shown]
	v_fma_f32 v5, v5, 2.0, -v1
	v_fma_f32 v6, v6, 2.0, -v2
	v_fmac_f32_e32 v11, 0xbf6c835e, v16
	v_fmac_f32_e32 v12, 0x3f6c835e, v15
	;; [unrolled: 1-line block ×8, first 2 shown]
	v_fma_f32 v15, v21, 2.0, -v11
	v_fma_f32 v16, v22, 2.0, -v12
	;; [unrolled: 1-line block ×10, first 2 shown]
	s_barrier
	ds_write_b128 v98, v[5:8]
	ds_write_b128 v98, v[13:16] offset:16
	ds_write_b128 v98, v[21:24] offset:32
	;; [unrolled: 1-line block ×7, first 2 shown]
	v_and_b32_e32 v1, 15, v0
	v_mad_u64_u32 v[29:30], s[10:11], v1, s8, v[92:93]
	s_waitcnt lgkmcnt(0)
	s_barrier
	global_load_dwordx4 v[25:28], v[29:30], off
	global_load_dwordx4 v[17:20], v[29:30], off offset:16
	global_load_dwordx4 v[5:8], v[29:30], off offset:32
	global_load_dwordx4 v[1:4], v[29:30], off offset:48
	global_load_dwordx4 v[21:24], v[29:30], off offset:64
	global_load_dwordx4 v[13:16], v[29:30], off offset:80
	global_load_dwordx4 v[9:12], v[29:30], off offset:96
	global_load_dwordx2 v[90:91], v[29:30], off offset:112
	ds_read2st64_b64 v[29:32], v97 offset1:4
	ds_read2st64_b64 v[33:36], v97 offset0:8 offset1:12
	ds_read2st64_b64 v[37:40], v97 offset0:16 offset1:20
	;; [unrolled: 1-line block ×7, first 2 shown]
	s_waitcnt vmcnt(0) lgkmcnt(0)
	s_barrier
	v_mul_f32_e32 v99, v32, v26
	v_fma_f32 v99, v31, v25, -v99
	v_mul_f32_e32 v31, v31, v26
	v_fmac_f32_e32 v31, v32, v25
	v_mul_f32_e32 v32, v34, v28
	v_fma_f32 v32, v33, v27, -v32
	v_mul_f32_e32 v33, v33, v28
	v_fmac_f32_e32 v33, v34, v27
	;; [unrolled: 4-line block ×15, first 2 shown]
	v_sub_f32_e32 v44, v29, v44
	v_sub_f32_e32 v45, v30, v45
	;; [unrolled: 1-line block ×4, first 2 shown]
	v_fma_f32 v36, v36, 2.0, -v52
	v_fma_f32 v37, v37, 2.0, -v53
	v_sub_f32_e32 v48, v32, v48
	v_sub_f32_e32 v49, v33, v49
	;; [unrolled: 1-line block ×13, first 2 shown]
	v_add_f32_e32 v52, v45, v52
	v_fma_f32 v29, v29, 2.0, -v44
	v_fma_f32 v30, v30, 2.0, -v45
	;; [unrolled: 1-line block ×16, first 2 shown]
	v_sub_f32_e32 v111, v48, v111
	v_add_f32_e32 v56, v49, v56
	v_mov_b32_e32 v120, v53
	v_mov_b32_e32 v121, v52
	v_sub_f32_e32 v36, v29, v36
	v_sub_f32_e32 v37, v30, v37
	;; [unrolled: 1-line block ×4, first 2 shown]
	v_fma_f32 v48, v48, 2.0, -v111
	v_fma_f32 v49, v49, 2.0, -v56
	v_sub_f32_e32 v38, v99, v38
	v_sub_f32_e32 v39, v31, v39
	;; [unrolled: 1-line block ×5, first 2 shown]
	v_mov_b32_e32 v116, v44
	v_mov_b32_e32 v117, v45
	v_fmac_f32_e32 v120, 0x3f3504f3, v111
	v_fmac_f32_e32 v121, 0x3f3504f3, v56
	v_fma_f32 v29, v29, 2.0, -v36
	v_fma_f32 v30, v30, 2.0, -v37
	;; [unrolled: 1-line block ×6, first 2 shown]
	v_add_f32_e32 v54, v47, v54
	v_fma_f32 v46, v46, 2.0, -v55
	v_fma_f32 v34, v34, 2.0, -v42
	;; [unrolled: 1-line block ×3, first 2 shown]
	v_sub_f32_e32 v113, v50, v113
	v_fmac_f32_e32 v116, 0xbf3504f3, v48
	v_fmac_f32_e32 v117, 0xbf3504f3, v49
	v_add_f32_e32 v119, v37, v40
	v_fmac_f32_e32 v120, 0xbf3504f3, v56
	v_fmac_f32_e32 v121, 0x3f3504f3, v111
	v_fma_f32 v47, v47, 2.0, -v54
	v_add_f32_e32 v112, v51, v112
	v_fma_f32 v50, v50, 2.0, -v113
	v_sub_f32_e32 v114, v29, v32
	v_sub_f32_e32 v115, v30, v33
	v_fmac_f32_e32 v116, 0xbf3504f3, v49
	v_fmac_f32_e32 v117, 0x3f3504f3, v48
	v_sub_f32_e32 v118, v36, v41
	v_fma_f32 v41, v37, 2.0, -v119
	v_fma_f32 v48, v53, 2.0, -v120
	;; [unrolled: 1-line block ×3, first 2 shown]
	v_sub_f32_e32 v52, v99, v34
	v_sub_f32_e32 v53, v31, v35
	v_mov_b32_e32 v56, v46
	v_sub_f32_e32 v111, v38, v43
	v_add_f32_e32 v122, v39, v42
	v_mov_b32_e32 v124, v54
	v_fma_f32 v51, v51, 2.0, -v112
	v_fma_f32 v32, v29, 2.0, -v114
	;; [unrolled: 1-line block ×6, first 2 shown]
	v_fmac_f32_e32 v56, 0xbf3504f3, v50
	v_mov_b32_e32 v99, v47
	v_fma_f32 v42, v38, 2.0, -v111
	v_fma_f32 v39, v39, 2.0, -v122
	v_mov_b32_e32 v123, v55
	v_fmac_f32_e32 v124, 0x3f3504f3, v112
	v_mov_b32_e32 v38, v41
	v_fma_f32 v44, v44, 2.0, -v116
	v_fmac_f32_e32 v99, 0xbf3504f3, v51
	v_fmac_f32_e32 v56, 0xbf3504f3, v51
	;; [unrolled: 1-line block ×4, first 2 shown]
	v_sub_f32_e32 v29, v32, v29
	v_sub_f32_e32 v30, v33, v30
	v_mov_b32_e32 v37, v40
	v_fmac_f32_e32 v38, 0xbf3504f3, v39
	v_fma_f32 v45, v45, 2.0, -v117
	v_fmac_f32_e32 v99, 0x3f3504f3, v50
	v_fma_f32 v35, v46, 2.0, -v56
	v_fmac_f32_e32 v123, 0xbf3504f3, v112
	v_fma_f32 v46, v54, 2.0, -v124
	v_fma_f32 v31, v32, 2.0, -v29
	v_fma_f32 v32, v33, 2.0, -v30
	v_mov_b32_e32 v33, v44
	v_fmac_f32_e32 v37, 0xbf3504f3, v42
	v_fmac_f32_e32 v38, 0x3f3504f3, v42
	v_mov_b32_e32 v42, v49
	v_fma_f32 v36, v47, 2.0, -v99
	v_fma_f32 v43, v55, 2.0, -v123
	v_fmac_f32_e32 v33, 0xbf6c835e, v35
	v_mov_b32_e32 v34, v45
	v_fmac_f32_e32 v42, 0xbec3ef15, v46
	v_fmac_f32_e32 v34, 0xbf6c835e, v36
	;; [unrolled: 1-line block ×5, first 2 shown]
	v_fma_f32 v35, v44, 2.0, -v33
	v_fma_f32 v44, v49, 2.0, -v42
	v_mov_b32_e32 v49, v116
	v_mov_b32_e32 v54, v119
	v_fma_f32 v36, v45, 2.0, -v34
	v_fmac_f32_e32 v37, 0xbf3504f3, v39
	v_sub_f32_e32 v45, v114, v53
	v_fmac_f32_e32 v49, 0x3ec3ef15, v56
	v_mov_b32_e32 v50, v117
	v_mov_b32_e32 v53, v118
	v_fmac_f32_e32 v54, 0x3f3504f3, v122
	v_fma_f32 v39, v40, 2.0, -v37
	v_fma_f32 v40, v41, 2.0, -v38
	v_mov_b32_e32 v41, v48
	v_fmac_f32_e32 v50, 0x3ec3ef15, v99
	v_fmac_f32_e32 v49, 0xbf6c835e, v99
	;; [unrolled: 1-line block ×4, first 2 shown]
	v_mov_b32_e32 v111, v120
	v_mov_b32_e32 v112, v121
	v_lshl_or_b32 v99, v0, 4, v0
	v_fmac_f32_e32 v41, 0xbec3ef15, v43
	v_fmac_f32_e32 v111, 0x3f6c835e, v123
	;; [unrolled: 1-line block ×3, first 2 shown]
	v_and_b32_e32 v99, 0xf0f, v99
	v_fmac_f32_e32 v41, 0xbf6c835e, v46
	v_add_f32_e32 v46, v115, v52
	v_fmac_f32_e32 v50, 0x3f6c835e, v56
	v_fmac_f32_e32 v53, 0xbf3504f3, v122
	;; [unrolled: 1-line block ×4, first 2 shown]
	v_lshlrev_b32_e32 v99, 3, v99
	v_fma_f32 v43, v48, 2.0, -v41
	v_fma_f32 v47, v114, 2.0, -v45
	;; [unrolled: 1-line block ×9, first 2 shown]
	ds_write2_b64 v99, v[31:32], v[35:36] offset1:16
	ds_write2_b64 v99, v[39:40], v[43:44] offset0:32 offset1:48
	ds_write2_b64 v99, v[47:48], v[51:52] offset0:64 offset1:80
	;; [unrolled: 1-line block ×7, first 2 shown]
	v_mad_u64_u32 v[111:112], s[8:9], v0, s8, v[92:93]
	s_waitcnt lgkmcnt(0)
	s_barrier
	global_load_dwordx4 v[45:48], v[111:112], off offset:1920
	global_load_dwordx4 v[41:44], v[111:112], off offset:1936
	;; [unrolled: 1-line block ×7, first 2 shown]
	global_load_dwordx2 v[92:93], v[111:112], off offset:2032
	ds_read2st64_b64 v[111:114], v97 offset0:8 offset1:12
	ds_read2st64_b64 v[115:118], v97 offset0:16 offset1:20
	;; [unrolled: 1-line block ×4, first 2 shown]
	s_waitcnt vmcnt(7) lgkmcnt(3)
	v_mul_f32_e32 v127, v112, v48
	v_fma_f32 v127, v111, v47, -v127
	v_mul_f32_e32 v128, v111, v48
	s_waitcnt vmcnt(6)
	v_mul_f32_e32 v111, v114, v42
	v_fma_f32 v129, v113, v41, -v111
	s_waitcnt lgkmcnt(2)
	v_mul_f32_e32 v111, v116, v44
	v_fma_f32 v131, v115, v43, -v111
	s_waitcnt vmcnt(5)
	v_mul_f32_e32 v111, v118, v38
	v_fma_f32 v133, v117, v37, -v111
	s_waitcnt lgkmcnt(1)
	v_mul_f32_e32 v111, v120, v40
	v_fma_f32 v135, v119, v39, -v111
	v_mul_f32_e32 v119, v119, v40
	s_waitcnt vmcnt(4)
	v_mul_f32_e32 v111, v122, v34
	v_mul_f32_e32 v130, v113, v42
	v_fmac_f32_e32 v119, v120, v39
	v_fma_f32 v120, v121, v33, -v111
	v_mul_f32_e32 v121, v121, v34
	s_waitcnt lgkmcnt(0)
	v_mul_f32_e32 v111, v124, v36
	v_fmac_f32_e32 v128, v112, v47
	v_fmac_f32_e32 v130, v114, v41
	;; [unrolled: 1-line block ×3, first 2 shown]
	v_fma_f32 v122, v123, v35, -v111
	ds_read2st64_b64 v[111:114], v97 offset0:40 offset1:44
	v_mul_f32_e32 v132, v115, v44
	v_mul_f32_e32 v123, v123, v36
	s_waitcnt vmcnt(3)
	v_mul_f32_e32 v115, v126, v30
	v_mul_f32_e32 v134, v117, v38
	v_fmac_f32_e32 v123, v124, v35
	v_fma_f32 v124, v125, v29, -v115
	v_mul_f32_e32 v125, v125, v30
	s_waitcnt lgkmcnt(0)
	v_mul_f32_e32 v115, v112, v32
	v_fmac_f32_e32 v132, v116, v43
	v_fmac_f32_e32 v134, v118, v37
	;; [unrolled: 1-line block ×3, first 2 shown]
	v_fma_f32 v126, v111, v31, -v115
	ds_read2st64_b64 v[115:118], v97 offset0:48 offset1:52
	v_mul_f32_e32 v136, v111, v32
	s_waitcnt vmcnt(2)
	v_mul_f32_e32 v111, v114, v50
	v_fma_f32 v137, v113, v49, -v111
	v_mul_f32_e32 v138, v113, v50
	s_waitcnt lgkmcnt(0)
	v_mul_f32_e32 v111, v116, v52
	v_fmac_f32_e32 v136, v112, v31
	v_fmac_f32_e32 v138, v114, v49
	v_fma_f32 v139, v115, v51, -v111
	ds_read2st64_b64 v[111:114], v97 offset0:56 offset1:60
	v_mul_f32_e32 v140, v115, v52
	s_waitcnt vmcnt(1)
	v_mul_f32_e32 v115, v118, v54
	v_fma_f32 v141, v117, v53, -v115
	v_mul_f32_e32 v142, v117, v54
	s_waitcnt lgkmcnt(0)
	v_mul_f32_e32 v115, v112, v56
	v_fmac_f32_e32 v140, v116, v51
	v_fmac_f32_e32 v142, v118, v53
	v_fma_f32 v143, v111, v55, -v115
	ds_read2st64_b64 v[115:118], v97 offset1:4
	v_mul_f32_e32 v111, v111, v56
	v_fmac_f32_e32 v111, v112, v55
	s_waitcnt vmcnt(0)
	v_mul_f32_e32 v112, v114, v93
	v_fma_f32 v112, v113, v92, -v112
	v_mul_f32_e32 v113, v113, v93
	v_fmac_f32_e32 v113, v114, v92
	s_waitcnt lgkmcnt(0)
	v_mul_f32_e32 v114, v118, v46
	v_fma_f32 v114, v117, v45, -v114
	v_mul_f32_e32 v117, v117, v46
	v_fmac_f32_e32 v117, v118, v45
	v_sub_f32_e32 v118, v115, v122
	v_sub_f32_e32 v122, v116, v123
	;; [unrolled: 1-line block ×4, first 2 shown]
	v_fma_f32 v131, v131, 2.0, -v123
	v_sub_f32_e32 v126, v127, v126
	v_sub_f32_e32 v136, v128, v136
	;; [unrolled: 1-line block ×4, first 2 shown]
	v_add_f32_e32 v123, v122, v123
	v_fma_f32 v116, v116, 2.0, -v122
	v_fma_f32 v132, v132, 2.0, -v139
	;; [unrolled: 1-line block ×3, first 2 shown]
	v_sub_f32_e32 v139, v118, v139
	v_fma_f32 v122, v122, 2.0, -v123
	v_sub_f32_e32 v143, v126, v111
	v_add_f32_e32 v140, v136, v140
	v_fma_f32 v115, v115, 2.0, -v118
	v_fma_f32 v127, v127, 2.0, -v126
	v_fma_f32 v119, v119, 2.0, -v111
	v_fma_f32 v118, v118, 2.0, -v139
	v_fma_f32 v111, v126, 2.0, -v143
	v_fma_f32 v126, v136, 2.0, -v140
	v_mov_b32_e32 v144, v122
	v_fma_f32 v128, v128, 2.0, -v136
	v_mov_b32_e32 v136, v118
	v_fmac_f32_e32 v144, 0xbf3504f3, v126
	v_fmac_f32_e32 v136, 0xbf3504f3, v111
	;; [unrolled: 1-line block ×3, first 2 shown]
	v_sub_f32_e32 v111, v114, v124
	v_sub_f32_e32 v124, v117, v125
	;; [unrolled: 1-line block ×3, first 2 shown]
	v_fmac_f32_e32 v136, 0xbf3504f3, v126
	v_sub_f32_e32 v126, v134, v142
	v_fma_f32 v133, v133, 2.0, -v125
	v_sub_f32_e32 v138, v130, v138
	v_sub_f32_e32 v112, v120, v112
	v_add_f32_e32 v125, v124, v125
	v_fma_f32 v117, v117, 2.0, -v124
	v_fma_f32 v134, v134, 2.0, -v126
	v_sub_f32_e32 v137, v129, v137
	v_sub_f32_e32 v113, v121, v113
	;; [unrolled: 1-line block ×3, first 2 shown]
	v_fma_f32 v124, v124, 2.0, -v125
	v_add_f32_e32 v145, v138, v112
	v_fma_f32 v130, v130, 2.0, -v138
	v_fma_f32 v120, v120, 2.0, -v112
	;; [unrolled: 1-line block ×3, first 2 shown]
	v_sub_f32_e32 v142, v137, v113
	v_fma_f32 v112, v138, 2.0, -v145
	v_mov_b32_e32 v138, v124
	v_fma_f32 v114, v114, 2.0, -v111
	v_fma_f32 v129, v129, 2.0, -v137
	v_fma_f32 v121, v121, 2.0, -v113
	v_fma_f32 v111, v137, 2.0, -v142
	v_mov_b32_e32 v137, v141
	v_fmac_f32_e32 v138, 0xbf3504f3, v112
	v_sub_f32_e32 v131, v115, v131
	v_sub_f32_e32 v119, v128, v119
	v_fmac_f32_e32 v137, 0xbf3504f3, v111
	v_fmac_f32_e32 v138, 0x3f3504f3, v111
	v_sub_f32_e32 v132, v116, v132
	v_fma_f32 v111, v115, 2.0, -v131
	v_fma_f32 v115, v128, 2.0, -v119
	v_sub_f32_e32 v128, v117, v134
	v_sub_f32_e32 v120, v129, v120
	;; [unrolled: 1-line block ×3, first 2 shown]
	v_fmac_f32_e32 v137, 0xbf3504f3, v112
	v_fma_f32 v112, v116, 2.0, -v132
	v_sub_f32_e32 v135, v127, v135
	v_fma_f32 v116, v117, 2.0, -v128
	v_fma_f32 v117, v129, 2.0, -v120
	;; [unrolled: 1-line block ×4, first 2 shown]
	v_sub_f32_e32 v127, v114, v133
	v_sub_f32_e32 v133, v112, v115
	;; [unrolled: 1-line block ×3, first 2 shown]
	v_fma_f32 v114, v114, 2.0, -v127
	v_fma_f32 v115, v112, 2.0, -v133
	;; [unrolled: 1-line block ×3, first 2 shown]
	v_sub_f32_e32 v130, v111, v113
	v_sub_f32_e32 v134, v114, v117
	v_sub_f32_e32 v112, v115, v112
	v_fma_f32 v117, v118, 2.0, -v136
	v_fma_f32 v118, v122, 2.0, -v144
	v_mov_b32_e32 v146, v123
	v_fma_f32 v113, v111, 2.0, -v130
	v_fma_f32 v111, v114, 2.0, -v134
	;; [unrolled: 1-line block ×5, first 2 shown]
	v_mov_b32_e32 v115, v117
	v_mov_b32_e32 v116, v118
	;; [unrolled: 1-line block ×3, first 2 shown]
	v_fmac_f32_e32 v146, 0x3f3504f3, v140
	v_fmac_f32_e32 v115, 0xbf6c835e, v122
	v_fmac_f32_e32 v116, 0xbf6c835e, v124
	v_fmac_f32_e32 v141, 0x3f3504f3, v143
	v_fmac_f32_e32 v146, 0x3f3504f3, v143
	v_mov_b32_e32 v143, v125
	v_sub_f32_e32 v111, v113, v111
	v_fmac_f32_e32 v115, 0xbec3ef15, v124
	v_fmac_f32_e32 v116, 0x3ec3ef15, v122
	;; [unrolled: 1-line block ×3, first 2 shown]
	v_mov_b32_e32 v140, v126
	v_fmac_f32_e32 v143, 0x3f3504f3, v145
	v_fma_f32 v113, v113, 2.0, -v111
	v_fma_f32 v117, v117, 2.0, -v115
	;; [unrolled: 1-line block ×3, first 2 shown]
	v_fmac_f32_e32 v140, 0x3f3504f3, v142
	v_fmac_f32_e32 v143, 0x3f3504f3, v142
	v_sub_f32_e32 v142, v131, v119
	v_add_f32_e32 v135, v132, v135
	ds_write2st64_b64 v97, v[113:114], v[117:118] offset1:4
	v_fma_f32 v117, v131, 2.0, -v142
	v_fma_f32 v118, v132, 2.0, -v135
	v_sub_f32_e32 v131, v127, v121
	v_add_f32_e32 v132, v128, v120
	v_fma_f32 v119, v127, 2.0, -v131
	v_fma_f32 v120, v128, 2.0, -v132
	v_mov_b32_e32 v113, v117
	v_mov_b32_e32 v114, v118
	v_fmac_f32_e32 v140, 0xbf3504f3, v145
	v_fmac_f32_e32 v113, 0xbf3504f3, v119
	;; [unrolled: 1-line block ×3, first 2 shown]
	v_fma_f32 v121, v139, 2.0, -v141
	v_fma_f32 v122, v123, 2.0, -v146
	v_fmac_f32_e32 v113, 0xbf3504f3, v120
	v_fmac_f32_e32 v114, 0x3f3504f3, v119
	v_fma_f32 v123, v126, 2.0, -v140
	v_fma_f32 v124, v125, 2.0, -v143
	v_mov_b32_e32 v119, v121
	v_mov_b32_e32 v120, v122
	v_fmac_f32_e32 v119, 0xbec3ef15, v123
	v_fmac_f32_e32 v120, 0xbec3ef15, v124
	;; [unrolled: 1-line block ×4, first 2 shown]
	v_mov_b32_e32 v123, v136
	v_mov_b32_e32 v124, v144
	v_fma_f32 v117, v117, 2.0, -v113
	v_fma_f32 v118, v118, 2.0, -v114
	;; [unrolled: 1-line block ×4, first 2 shown]
	v_fmac_f32_e32 v123, 0x3ec3ef15, v137
	v_fmac_f32_e32 v124, 0x3ec3ef15, v138
	ds_write2st64_b64 v97, v[117:118], v[121:122] offset0:8 offset1:12
	v_sub_f32_e32 v117, v130, v129
	v_add_f32_e32 v118, v133, v134
	v_fmac_f32_e32 v123, 0xbf6c835e, v138
	v_fmac_f32_e32 v124, 0x3f6c835e, v137
	v_fma_f32 v121, v130, 2.0, -v117
	v_fma_f32 v122, v133, 2.0, -v118
	;; [unrolled: 1-line block ×4, first 2 shown]
	ds_write2st64_b64 v97, v[121:122], v[125:126] offset0:16 offset1:20
	v_mov_b32_e32 v121, v142
	v_mov_b32_e32 v122, v135
	;; [unrolled: 1-line block ×4, first 2 shown]
	v_fmac_f32_e32 v121, 0x3f3504f3, v131
	v_fmac_f32_e32 v122, 0x3f3504f3, v132
	;; [unrolled: 1-line block ×8, first 2 shown]
	v_fma_f32 v125, v142, 2.0, -v121
	v_fma_f32 v126, v135, 2.0, -v122
	;; [unrolled: 1-line block ×4, first 2 shown]
	ds_write2st64_b64 v97, v[125:126], v[129:130] offset0:24 offset1:28
	ds_write2st64_b64 v97, v[111:112], v[115:116] offset0:32 offset1:36
	;; [unrolled: 1-line block ×5, first 2 shown]
	s_waitcnt lgkmcnt(0)
	s_barrier
	global_load_dwordx2 v[111:112], v97, s[6:7]
	global_load_dwordx2 v[113:114], v97, s[6:7] offset:2048
	global_load_dwordx2 v[115:116], v94, s[6:7]
	global_load_dwordx2 v[117:118], v95, s[6:7]
	;; [unrolled: 1-line block ×6, first 2 shown]
                                        ; kill: killed $vgpr103
                                        ; kill: killed $vgpr101
                                        ; kill: killed $vgpr96
                                        ; kill: killed $vgpr95
                                        ; kill: killed $vgpr104
                                        ; kill: killed $vgpr94
	s_nop 0
	global_load_dwordx2 v[94:95], v100, s[6:7]
	global_load_dwordx2 v[127:128], v102, s[6:7]
	;; [unrolled: 1-line block ×3, first 2 shown]
                                        ; kill: killed $vgpr105
                                        ; kill: killed $vgpr102
                                        ; kill: killed $vgpr100
	global_load_dwordx2 v[131:132], v106, s[6:7]
	global_load_dwordx2 v[133:134], v107, s[6:7]
                                        ; kill: killed $vgpr107
                                        ; kill: killed $vgpr106
	global_load_dwordx2 v[135:136], v108, s[6:7]
	s_nop 0
	global_load_dwordx2 v[108:109], v109, s[6:7]
	s_nop 0
	global_load_dwordx2 v[137:138], v110, s[6:7]
	ds_read2st64_b64 v[100:103], v97 offset1:4
	ds_read2st64_b64 v[104:107], v97 offset0:8 offset1:12
	s_waitcnt vmcnt(15) lgkmcnt(1)
	v_mul_f32_e32 v96, v101, v112
	v_mul_f32_e32 v140, v100, v112
	v_fma_f32 v139, v100, v111, -v96
	v_fmac_f32_e32 v140, v101, v111
	s_waitcnt vmcnt(14)
	v_mul_f32_e32 v96, v103, v114
	v_mul_f32_e32 v111, v102, v114
	v_fma_f32 v110, v102, v113, -v96
	v_fmac_f32_e32 v111, v103, v113
	ds_read2st64_b64 v[100:103], v97 offset0:16 offset1:20
	s_waitcnt vmcnt(13) lgkmcnt(1)
	v_mul_f32_e32 v96, v105, v116
	v_mul_f32_e32 v113, v104, v116
	v_fma_f32 v112, v104, v115, -v96
	v_fmac_f32_e32 v113, v105, v115
	s_waitcnt vmcnt(12)
	v_mul_f32_e32 v96, v107, v118
	v_mul_f32_e32 v115, v106, v118
	v_fma_f32 v114, v106, v117, -v96
	v_fmac_f32_e32 v115, v107, v117
	;; [unrolled: 11-line block ×3, first 2 shown]
	ds_write2st64_b64 v97, v[139:140], v[110:111] offset1:4
	ds_write2st64_b64 v97, v[112:113], v[114:115] offset0:8 offset1:12
	ds_write2st64_b64 v97, v[116:117], v[100:101] offset0:16 offset1:20
	s_waitcnt vmcnt(9) lgkmcnt(3)
	v_mul_f32_e32 v96, v105, v124
	v_mul_f32_e32 v111, v104, v124
	ds_read2st64_b64 v[100:103], v97 offset0:32 offset1:36
	v_fma_f32 v110, v104, v123, -v96
	v_fmac_f32_e32 v111, v105, v123
	s_waitcnt vmcnt(8)
	v_mul_f32_e32 v96, v107, v126
	v_mul_f32_e32 v105, v106, v126
	v_fma_f32 v104, v106, v125, -v96
	v_fmac_f32_e32 v105, v107, v125
	ds_write2st64_b64 v97, v[110:111], v[104:105] offset0:24 offset1:28
	ds_read2st64_b64 v[104:107], v97 offset0:40 offset1:44
	s_waitcnt vmcnt(7) lgkmcnt(2)
	v_mul_f32_e32 v96, v101, v95
	v_mul_f32_e32 v111, v100, v95
	v_fma_f32 v110, v100, v94, -v96
	v_fmac_f32_e32 v111, v101, v94
	s_waitcnt vmcnt(6)
	v_mul_f32_e32 v94, v103, v128
	v_mul_f32_e32 v95, v102, v128
	v_fma_f32 v94, v102, v127, -v94
	v_fmac_f32_e32 v95, v103, v127
	ds_write2st64_b64 v97, v[110:111], v[94:95] offset0:32 offset1:36
	s_waitcnt vmcnt(5) lgkmcnt(1)
	v_mul_f32_e32 v95, v104, v130
	ds_read2st64_b64 v[100:103], v97 offset0:48 offset1:52
	v_mul_f32_e32 v94, v105, v130
	v_fmac_f32_e32 v95, v105, v129
	s_waitcnt vmcnt(4)
	v_mul_f32_e32 v96, v107, v132
	v_mul_f32_e32 v105, v106, v132
	v_fma_f32 v94, v104, v129, -v94
	v_fma_f32 v104, v106, v131, -v96
	v_fmac_f32_e32 v105, v107, v131
	ds_write2st64_b64 v97, v[94:95], v[104:105] offset0:40 offset1:44
	ds_read2st64_b64 v[104:107], v97 offset0:56 offset1:60
	s_waitcnt vmcnt(3) lgkmcnt(2)
	v_mul_f32_e32 v95, v100, v134
	v_mul_f32_e32 v94, v101, v134
	v_fmac_f32_e32 v95, v101, v133
	s_waitcnt vmcnt(2)
	v_mul_f32_e32 v96, v103, v136
	v_mul_f32_e32 v101, v102, v136
	v_fma_f32 v94, v100, v133, -v94
	v_fma_f32 v100, v102, v135, -v96
	v_fmac_f32_e32 v101, v103, v135
	ds_write2st64_b64 v97, v[94:95], v[100:101] offset0:48 offset1:52
	s_waitcnt vmcnt(1) lgkmcnt(1)
	v_mul_f32_e32 v94, v105, v109
	v_mul_f32_e32 v95, v104, v109
	s_waitcnt vmcnt(0)
	v_mul_f32_e32 v96, v107, v138
	v_mul_f32_e32 v101, v106, v138
	v_fma_f32 v94, v104, v108, -v94
	v_fmac_f32_e32 v95, v105, v108
	v_fma_f32 v100, v106, v137, -v96
	v_fmac_f32_e32 v101, v107, v137
	ds_write2st64_b64 v97, v[94:95], v[100:101] offset0:56 offset1:60
	s_waitcnt lgkmcnt(0)
	s_barrier
	ds_read2st64_b64 v[100:103], v97 offset1:4
	ds_read2st64_b64 v[104:107], v97 offset0:32 offset1:36
	ds_read2st64_b64 v[108:111], v97 offset0:8 offset1:12
	;; [unrolled: 1-line block ×4, first 2 shown]
	s_waitcnt lgkmcnt(3)
	v_sub_f32_e32 v94, v100, v104
	v_sub_f32_e32 v95, v101, v105
	v_sub_f32_e32 v121, v102, v106
	v_sub_f32_e32 v122, v103, v107
	v_fma_f32 v96, v100, 2.0, -v94
	v_fma_f32 v120, v101, 2.0, -v95
	;; [unrolled: 1-line block ×4, first 2 shown]
	ds_read2st64_b64 v[100:103], v97 offset0:40 offset1:44
	s_waitcnt lgkmcnt(1)
	v_sub_f32_e32 v117, v113, v117
	v_sub_f32_e32 v116, v112, v116
	v_fma_f32 v113, v113, 2.0, -v117
	v_add_f32_e32 v117, v94, v117
	s_waitcnt lgkmcnt(0)
	v_sub_f32_e32 v125, v108, v100
	v_sub_f32_e32 v126, v109, v101
	v_sub_f32_e32 v127, v110, v102
	v_sub_f32_e32 v128, v111, v103
	ds_read2st64_b64 v[100:103], v97 offset0:24 offset1:28
	ds_read2st64_b64 v[104:107], v97 offset0:56 offset1:60
	v_fma_f32 v112, v112, 2.0, -v116
	v_sub_f32_e32 v118, v114, v118
	v_sub_f32_e32 v116, v95, v116
	v_fma_f32 v94, v94, 2.0, -v117
	s_waitcnt lgkmcnt(0)
	v_sub_f32_e32 v105, v101, v105
	v_sub_f32_e32 v104, v100, v104
	v_add_f32_e32 v129, v125, v105
	v_sub_f32_e32 v119, v115, v119
	v_fma_f32 v114, v114, 2.0, -v118
	v_fma_f32 v108, v108, 2.0, -v125
	v_sub_f32_e32 v106, v102, v106
	v_fma_f32 v100, v100, 2.0, -v104
	v_fma_f32 v95, v95, 2.0, -v116
	v_sub_f32_e32 v130, v126, v104
	v_fma_f32 v104, v125, 2.0, -v129
	v_mov_b32_e32 v125, v94
	v_sub_f32_e32 v118, v122, v118
	v_fma_f32 v115, v115, 2.0, -v119
	v_fma_f32 v109, v109, 2.0, -v126
	v_sub_f32_e32 v107, v103, v107
	v_fma_f32 v101, v101, 2.0, -v105
	v_fma_f32 v105, v126, 2.0, -v130
	v_fmac_f32_e32 v125, 0xbf3504f3, v104
	v_mov_b32_e32 v126, v95
	v_add_f32_e32 v119, v121, v119
	v_fma_f32 v122, v122, 2.0, -v118
	v_sub_f32_e32 v132, v128, v106
	v_fma_f32 v111, v111, 2.0, -v128
	v_fmac_f32_e32 v126, 0xbf3504f3, v105
	v_fmac_f32_e32 v125, 0x3f3504f3, v105
	v_fma_f32 v121, v121, 2.0, -v119
	v_add_f32_e32 v131, v127, v107
	v_fma_f32 v105, v128, 2.0, -v132
	v_mov_b32_e32 v128, v122
	v_fma_f32 v110, v110, 2.0, -v127
	v_fmac_f32_e32 v126, 0xbf3504f3, v104
	v_fma_f32 v104, v127, 2.0, -v131
	v_mov_b32_e32 v127, v121
	v_fmac_f32_e32 v128, 0xbf3504f3, v105
	v_sub_f32_e32 v113, v120, v113
	v_fma_f32 v102, v102, 2.0, -v106
	v_fma_f32 v103, v103, 2.0, -v107
	v_fmac_f32_e32 v127, 0xbf3504f3, v104
	v_fmac_f32_e32 v128, 0xbf3504f3, v104
	v_fma_f32 v104, v120, 2.0, -v113
	v_sub_f32_e32 v120, v108, v100
	v_sub_f32_e32 v133, v109, v101
	;; [unrolled: 1-line block ×3, first 2 shown]
	v_fma_f32 v100, v108, 2.0, -v120
	v_fma_f32 v101, v109, 2.0, -v133
	v_sub_f32_e32 v108, v123, v114
	v_sub_f32_e32 v109, v124, v115
	;; [unrolled: 1-line block ×4, first 2 shown]
	v_fmac_f32_e32 v127, 0x3f3504f3, v105
	v_fma_f32 v96, v96, 2.0, -v112
	v_fma_f32 v105, v123, 2.0, -v108
	;; [unrolled: 1-line block ×5, first 2 shown]
	v_sub_f32_e32 v123, v96, v100
	v_sub_f32_e32 v134, v105, v102
	;; [unrolled: 1-line block ×4, first 2 shown]
	v_fma_f32 v96, v96, 2.0, -v123
	v_fma_f32 v100, v105, 2.0, -v134
	;; [unrolled: 1-line block ×4, first 2 shown]
	v_mov_b32_e32 v122, v117
	v_sub_f32_e32 v100, v96, v100
	v_fma_f32 v94, v94, 2.0, -v125
	v_fma_f32 v95, v95, 2.0, -v126
	v_fmac_f32_e32 v122, 0x3f3504f3, v129
	v_mov_b32_e32 v136, v116
	v_fma_f32 v107, v104, 2.0, -v124
	v_fma_f32 v104, v96, 2.0, -v100
	;; [unrolled: 1-line block ×3, first 2 shown]
	v_mov_b32_e32 v102, v94
	v_mov_b32_e32 v103, v95
	v_fmac_f32_e32 v136, 0x3f3504f3, v130
	v_fmac_f32_e32 v122, 0x3f3504f3, v130
	v_mov_b32_e32 v130, v118
	v_fmac_f32_e32 v102, 0xbf6c835e, v96
	v_fmac_f32_e32 v103, 0xbf6c835e, v106
	;; [unrolled: 1-line block ×3, first 2 shown]
	v_mov_b32_e32 v129, v119
	v_fmac_f32_e32 v130, 0x3f3504f3, v132
	v_sub_f32_e32 v101, v107, v101
	v_fmac_f32_e32 v102, 0x3ec3ef15, v106
	v_fmac_f32_e32 v103, 0xbec3ef15, v96
	;; [unrolled: 1-line block ×4, first 2 shown]
	v_add_f32_e32 v121, v112, v133
	v_sub_f32_e32 v131, v113, v120
	v_fma_f32 v105, v107, 2.0, -v101
	v_fma_f32 v106, v94, 2.0, -v102
	;; [unrolled: 1-line block ×3, first 2 shown]
	v_fmac_f32_e32 v129, 0x3f3504f3, v132
	v_fma_f32 v94, v112, 2.0, -v121
	v_fma_f32 v95, v113, 2.0, -v131
	v_add_f32_e32 v120, v108, v115
	v_sub_f32_e32 v132, v109, v114
	s_barrier
	ds_write_b128 v98, v[104:107]
	v_fma_f32 v96, v108, 2.0, -v120
	v_fma_f32 v106, v109, 2.0, -v132
	v_mov_b32_e32 v104, v94
	v_mov_b32_e32 v105, v95
	v_fmac_f32_e32 v104, 0xbf3504f3, v96
	v_fmac_f32_e32 v105, 0xbf3504f3, v106
	;; [unrolled: 1-line block ×4, first 2 shown]
	v_fma_f32 v96, v117, 2.0, -v122
	v_fma_f32 v111, v116, 2.0, -v136
	;; [unrolled: 1-line block ×6, first 2 shown]
	v_mov_b32_e32 v106, v96
	v_mov_b32_e32 v107, v111
	v_fmac_f32_e32 v106, 0xbec3ef15, v94
	v_fmac_f32_e32 v107, 0xbec3ef15, v95
	;; [unrolled: 1-line block ×4, first 2 shown]
	v_fma_f32 v110, v96, 2.0, -v106
	v_fma_f32 v111, v111, 2.0, -v107
	ds_write_b128 v98, v[108:111] offset:16
	v_mov_b32_e32 v110, v125
	v_mov_b32_e32 v111, v126
	v_mad_u64_u32 v[94:95], s[6:7], s2, v89, 0
	v_fmac_f32_e32 v110, 0x3ec3ef15, v127
	v_fmac_f32_e32 v111, 0x3ec3ef15, v128
	v_mov_b32_e32 v116, v121
	v_mov_b32_e32 v117, v131
	;; [unrolled: 1-line block ×4, first 2 shown]
	v_add_f32_e32 v108, v123, v135
	v_sub_f32_e32 v109, v124, v134
	v_fmac_f32_e32 v110, 0x3f6c835e, v128
	v_fmac_f32_e32 v111, 0xbf6c835e, v127
	;; [unrolled: 1-line block ×6, first 2 shown]
	v_fma_f32 v112, v123, 2.0, -v108
	v_fma_f32 v113, v124, 2.0, -v109
	;; [unrolled: 1-line block ×4, first 2 shown]
	v_fmac_f32_e32 v116, 0x3f3504f3, v132
	v_fmac_f32_e32 v117, 0xbf3504f3, v120
	;; [unrolled: 1-line block ×4, first 2 shown]
	v_fma_f32 v120, v121, 2.0, -v116
	v_fma_f32 v121, v131, 2.0, -v117
	;; [unrolled: 1-line block ×4, first 2 shown]
	ds_write_b128 v98, v[112:115] offset:32
	ds_write_b128 v98, v[120:123] offset:48
	;; [unrolled: 1-line block ×6, first 2 shown]
	s_waitcnt lgkmcnt(0)
	s_barrier
	ds_read2st64_b64 v[100:103], v97 offset1:4
	ds_read2st64_b64 v[104:107], v97 offset0:8 offset1:12
	ds_read2st64_b64 v[108:111], v97 offset0:16 offset1:20
	;; [unrolled: 1-line block ×4, first 2 shown]
	v_mad_u64_u32 v[95:96], s[2:3], s3, v89, v[95:96]
	s_waitcnt lgkmcnt(4)
	v_mul_f32_e32 v89, v26, v103
	v_mul_f32_e32 v26, v26, v102
	v_fmac_f32_e32 v89, v25, v102
	v_fma_f32 v96, v25, v103, -v26
	s_waitcnt lgkmcnt(3)
	v_mul_f32_e32 v98, v28, v105
	v_mul_f32_e32 v25, v28, v104
	v_fmac_f32_e32 v98, v27, v104
	v_fma_f32 v102, v27, v105, -v25
	v_mul_f32_e32 v103, v18, v107
	v_mul_f32_e32 v18, v18, v106
	ds_read2st64_b64 v[25:28], v97 offset0:40 offset1:44
	v_fmac_f32_e32 v103, v17, v106
	v_fma_f32 v104, v17, v107, -v18
	s_waitcnt lgkmcnt(3)
	v_mul_f32_e32 v105, v20, v109
	v_mul_f32_e32 v17, v20, v108
	;; [unrolled: 1-line block ×4, first 2 shown]
	v_fmac_f32_e32 v105, v19, v108
	v_fma_f32 v106, v19, v109, -v17
	v_fma_f32 v108, v5, v111, -v6
	ds_read2st64_b64 v[17:20], v97 offset0:48 offset1:52
	s_waitcnt lgkmcnt(3)
	v_mul_f32_e32 v111, v2, v115
	v_mul_f32_e32 v2, v2, v114
	v_fmac_f32_e32 v107, v5, v110
	v_mul_f32_e32 v109, v8, v113
	v_mul_f32_e32 v5, v8, v112
	v_fmac_f32_e32 v111, v1, v114
	v_fma_f32 v1, v1, v115, -v2
	s_waitcnt lgkmcnt(2)
	v_mul_f32_e32 v2, v4, v117
	v_mul_f32_e32 v4, v4, v116
	v_fmac_f32_e32 v109, v7, v112
	v_fma_f32 v110, v7, v113, -v5
	ds_read2st64_b64 v[5:8], v97 offset0:56 offset1:60
	v_fmac_f32_e32 v2, v3, v116
	v_fma_f32 v3, v3, v117, -v4
	v_mul_f32_e32 v4, v22, v119
	v_mul_f32_e32 v22, v22, v118
	v_fmac_f32_e32 v4, v21, v118
	v_fma_f32 v21, v21, v119, -v22
	s_waitcnt lgkmcnt(2)
	v_mul_f32_e32 v22, v24, v26
	v_mul_f32_e32 v24, v24, v25
	v_fmac_f32_e32 v22, v23, v25
	v_fma_f32 v23, v23, v26, -v24
	v_mul_f32_e32 v24, v14, v28
	v_mul_f32_e32 v14, v14, v27
	v_fmac_f32_e32 v24, v13, v27
	v_fma_f32 v13, v13, v28, -v14
	s_waitcnt lgkmcnt(1)
	v_mul_f32_e32 v14, v16, v18
	v_mul_f32_e32 v16, v16, v17
	v_fmac_f32_e32 v14, v15, v17
	v_fma_f32 v15, v15, v18, -v16
	v_mul_f32_e32 v16, v10, v20
	v_mul_f32_e32 v10, v10, v19
	v_fmac_f32_e32 v16, v9, v19
	v_fma_f32 v9, v9, v20, -v10
	s_waitcnt lgkmcnt(0)
	v_mul_f32_e32 v10, v12, v6
	v_fmac_f32_e32 v10, v11, v5
	v_mul_f32_e32 v5, v12, v5
	v_fma_f32 v5, v11, v6, -v5
	v_mul_f32_e32 v6, v91, v8
	v_fmac_f32_e32 v6, v90, v7
	v_mul_f32_e32 v7, v91, v7
	v_fma_f32 v7, v90, v8, -v7
	v_sub_f32_e32 v3, v101, v3
	v_sub_f32_e32 v12, v105, v14
	;; [unrolled: 1-line block ×4, first 2 shown]
	v_fma_f32 v15, v105, 2.0, -v12
	v_sub_f32_e32 v19, v102, v23
	v_sub_f32_e32 v10, v109, v10
	;; [unrolled: 1-line block ×8, first 2 shown]
	v_fma_f32 v11, v101, 2.0, -v3
	v_fma_f32 v17, v106, 2.0, -v14
	v_sub_f32_e32 v18, v98, v22
	v_sub_f32_e32 v5, v110, v5
	v_fma_f32 v23, v109, 2.0, -v10
	v_fma_f32 v26, v89, 2.0, -v4
	;; [unrolled: 1-line block ×3, first 2 shown]
	v_sub_f32_e32 v16, v107, v16
	v_fma_f32 v89, v108, 2.0, -v9
	v_sub_f32_e32 v24, v103, v24
	v_fma_f32 v91, v104, 2.0, -v13
	;; [unrolled: 2-line block ×3, first 2 shown]
	v_add_f32_e32 v14, v2, v14
	v_fma_f32 v3, v3, 2.0, -v12
	v_sub_f32_e32 v10, v19, v10
	v_fma_f32 v8, v100, 2.0, -v2
	v_fma_f32 v22, v102, 2.0, -v19
	;; [unrolled: 1-line block ×7, first 2 shown]
	v_add_f32_e32 v5, v18, v5
	v_fma_f32 v19, v19, 2.0, -v10
	v_sub_f32_e32 v89, v27, v89
	v_sub_f32_e32 v1, v91, v1
	v_mov_b32_e32 v100, v3
	v_fma_f32 v20, v98, 2.0, -v18
	v_fma_f32 v18, v18, 2.0, -v5
	v_sub_f32_e32 v28, v26, v28
	v_fma_f32 v27, v27, 2.0, -v89
	v_sub_f32_e32 v16, v21, v16
	v_sub_f32_e32 v96, v90, v96
	v_fma_f32 v91, v91, 2.0, -v1
	v_mov_b32_e32 v98, v2
	v_fmac_f32_e32 v100, 0xbf3504f3, v19
	v_fma_f32 v26, v26, 2.0, -v28
	v_add_f32_e32 v9, v4, v9
	v_fma_f32 v21, v21, 2.0, -v16
	v_fma_f32 v90, v90, 2.0, -v96
	v_sub_f32_e32 v6, v13, v6
	v_fmac_f32_e32 v98, 0xbf3504f3, v18
	v_fmac_f32_e32 v100, 0xbf3504f3, v18
	v_sub_f32_e32 v91, v27, v91
	v_fma_f32 v4, v4, 2.0, -v9
	v_add_f32_e32 v7, v24, v7
	v_fma_f32 v13, v13, 2.0, -v6
	v_fmac_f32_e32 v98, 0x3f3504f3, v19
	v_fma_f32 v19, v3, 2.0, -v100
	v_mov_b32_e32 v104, v12
	v_sub_f32_e32 v90, v26, v90
	v_fma_f32 v3, v27, 2.0, -v91
	v_mov_b32_e32 v27, v21
	v_fma_f32 v24, v24, 2.0, -v7
	v_fma_f32 v18, v2, 2.0, -v98
	v_fmac_f32_e32 v104, 0x3f3504f3, v10
	v_fma_f32 v2, v26, 2.0, -v90
	v_mov_b32_e32 v26, v4
	v_fmac_f32_e32 v27, 0xbf3504f3, v13
	v_mov_b32_e32 v106, v9
	v_sub_f32_e32 v15, v8, v15
	v_sub_f32_e32 v17, v11, v17
	;; [unrolled: 1-line block ×4, first 2 shown]
	v_mov_b32_e32 v103, v14
	v_fmac_f32_e32 v104, 0xbf3504f3, v5
	v_fmac_f32_e32 v26, 0xbf3504f3, v24
	;; [unrolled: 1-line block ×4, first 2 shown]
	v_mov_b32_e32 v107, v16
	v_fma_f32 v22, v22, 2.0, -v25
	v_add_f32_e32 v101, v15, v25
	v_sub_f32_e32 v102, v17, v23
	v_fmac_f32_e32 v103, 0x3f3504f3, v5
	v_fma_f32 v25, v12, 2.0, -v104
	v_fmac_f32_e32 v26, 0x3f3504f3, v13
	v_fma_f32 v12, v21, 2.0, -v27
	v_fmac_f32_e32 v107, 0x3f3504f3, v6
	v_fmac_f32_e32 v106, 0x3f3504f3, v6
	v_mov_b32_e32 v6, v19
	v_fma_f32 v11, v11, 2.0, -v17
	v_fma_f32 v17, v17, 2.0, -v102
	v_fmac_f32_e32 v103, 0x3f3504f3, v10
	v_fma_f32 v10, v4, 2.0, -v26
	v_sub_f32_e32 v96, v89, v96
	v_mov_b32_e32 v5, v18
	v_fmac_f32_e32 v6, 0xbf6c835e, v12
	v_fma_f32 v8, v8, 2.0, -v15
	v_fma_f32 v20, v20, 2.0, -v23
	;; [unrolled: 1-line block ×4, first 2 shown]
	v_add_f32_e32 v105, v28, v1
	v_fma_f32 v14, v89, 2.0, -v96
	v_fmac_f32_e32 v5, 0xbf6c835e, v10
	v_fmac_f32_e32 v6, 0xbec3ef15, v10
	v_mov_b32_e32 v10, v17
	v_sub_f32_e32 v20, v8, v20
	v_fma_f32 v13, v28, 2.0, -v105
	v_fma_f32 v21, v9, 2.0, -v106
	v_mov_b32_e32 v9, v15
	v_fmac_f32_e32 v10, 0xbf3504f3, v14
	v_sub_f32_e32 v22, v11, v22
	v_fma_f32 v8, v8, 2.0, -v20
	v_fmac_f32_e32 v107, 0xbf3504f3, v7
	v_fmac_f32_e32 v5, 0x3ec3ef15, v12
	;; [unrolled: 1-line block ×4, first 2 shown]
	v_fma_f32 v11, v11, 2.0, -v22
	v_fma_f32 v16, v16, 2.0, -v107
	v_sub_f32_e32 v1, v8, v2
	v_fma_f32 v7, v18, 2.0, -v5
	v_fmac_f32_e32 v9, 0x3f3504f3, v14
	v_fma_f32 v12, v17, 2.0, -v10
	v_mov_b32_e32 v14, v25
	v_add_f32_e32 v17, v20, v91
	v_sub_f32_e32 v18, v22, v90
	v_sub_f32_e32 v2, v11, v3
	v_fma_f32 v3, v8, 2.0, -v1
	v_fma_f32 v8, v19, 2.0, -v6
	v_mov_b32_e32 v13, v23
	v_fmac_f32_e32 v14, 0xbec3ef15, v16
	v_fma_f32 v19, v20, 2.0, -v17
	v_fma_f32 v20, v22, 2.0, -v18
	v_mov_b32_e32 v22, v100
	v_fmac_f32_e32 v13, 0xbec3ef15, v21
	v_fmac_f32_e32 v14, 0xbf6c835e, v21
	v_mov_b32_e32 v21, v98
	v_fmac_f32_e32 v22, 0x3ec3ef15, v27
	v_fmac_f32_e32 v13, 0x3f6c835e, v16
	v_fma_f32 v16, v25, 2.0, -v14
	v_fmac_f32_e32 v21, 0x3ec3ef15, v26
	v_fmac_f32_e32 v22, 0xbf6c835e, v26
	v_mov_b32_e32 v25, v101
	v_mov_b32_e32 v26, v102
	;; [unrolled: 1-line block ×4, first 2 shown]
	v_fmac_f32_e32 v25, 0x3f3504f3, v105
	v_fmac_f32_e32 v26, 0x3f3504f3, v96
	;; [unrolled: 1-line block ×9, first 2 shown]
	v_fma_f32 v4, v11, 2.0, -v2
	v_fma_f32 v11, v15, 2.0, -v9
	;; [unrolled: 1-line block ×9, first 2 shown]
	s_barrier
	ds_write2_b64 v99, v[3:4], v[7:8] offset1:16
	ds_write2_b64 v99, v[11:12], v[15:16] offset0:32 offset1:48
	ds_write2_b64 v99, v[19:20], v[23:24] offset0:64 offset1:80
	;; [unrolled: 1-line block ×7, first 2 shown]
	s_waitcnt lgkmcnt(0)
	s_barrier
	ds_read2st64_b64 v[1:4], v97 offset1:4
	ds_read2st64_b64 v[5:8], v97 offset0:8 offset1:12
	ds_read2st64_b64 v[9:12], v97 offset0:16 offset1:20
	;; [unrolled: 1-line block ×7, first 2 shown]
	s_waitcnt lgkmcnt(7)
	v_mul_f32_e32 v89, v46, v4
	v_fmac_f32_e32 v89, v45, v3
	v_mul_f32_e32 v3, v46, v3
	v_fma_f32 v3, v45, v4, -v3
	s_waitcnt lgkmcnt(6)
	v_mul_f32_e32 v4, v48, v6
	v_fmac_f32_e32 v4, v47, v5
	v_mul_f32_e32 v5, v48, v5
	v_fma_f32 v5, v47, v6, -v5
	v_mul_f32_e32 v6, v42, v8
	v_fmac_f32_e32 v6, v41, v7
	v_mul_f32_e32 v7, v42, v7
	v_fma_f32 v7, v41, v8, -v7
	s_waitcnt lgkmcnt(5)
	v_mul_f32_e32 v8, v44, v10
	v_fmac_f32_e32 v8, v43, v9
	v_mul_f32_e32 v9, v44, v9
	v_fma_f32 v9, v43, v10, -v9
	;; [unrolled: 9-line block ×6, first 2 shown]
	v_mul_f32_e32 v26, v54, v28
	v_fmac_f32_e32 v26, v53, v27
	v_mul_f32_e32 v27, v54, v27
	v_fma_f32 v27, v53, v28, -v27
	s_waitcnt lgkmcnt(0)
	v_mul_f32_e32 v28, v56, v99
	v_mul_f32_e32 v29, v56, v98
	;; [unrolled: 1-line block ×3, first 2 shown]
	v_fmac_f32_e32 v28, v55, v98
	v_fma_f32 v29, v55, v99, -v29
	v_fmac_f32_e32 v30, v92, v100
	v_mul_f32_e32 v31, v93, v100
	v_sub_f32_e32 v16, v1, v16
	v_sub_f32_e32 v17, v2, v17
	;; [unrolled: 1-line block ×4, first 2 shown]
	v_fma_f32 v31, v92, v101, -v31
	v_fma_f32 v8, v8, 2.0, -v24
	v_fma_f32 v9, v9, 2.0, -v25
	v_sub_f32_e32 v20, v4, v20
	v_sub_f32_e32 v21, v5, v21
	;; [unrolled: 1-line block ×8, first 2 shown]
	v_add_f32_e32 v25, v16, v25
	v_sub_f32_e32 v24, v17, v24
	v_fma_f32 v1, v1, 2.0, -v16
	v_fma_f32 v4, v4, 2.0, -v20
	;; [unrolled: 1-line block ×4, first 2 shown]
	v_sub_f32_e32 v19, v3, v19
	v_fma_f32 v32, v89, 2.0, -v18
	v_sub_f32_e32 v27, v11, v27
	v_fma_f32 v10, v10, 2.0, -v26
	v_sub_f32_e32 v23, v7, v23
	v_fma_f32 v6, v6, 2.0, -v22
	v_sub_f32_e32 v31, v15, v31
	v_fma_f32 v14, v14, 2.0, -v30
	v_fma_f32 v16, v16, 2.0, -v25
	v_add_f32_e32 v29, v20, v29
	v_sub_f32_e32 v28, v21, v28
	v_mov_b32_e32 v40, v24
	v_fma_f32 v2, v2, 2.0, -v17
	v_fma_f32 v5, v5, 2.0, -v21
	;; [unrolled: 1-line block ×6, first 2 shown]
	v_sub_f32_e32 v8, v1, v8
	v_fma_f32 v17, v17, 2.0, -v24
	v_sub_f32_e32 v12, v4, v12
	v_fma_f32 v20, v20, 2.0, -v29
	v_sub_f32_e32 v10, v32, v10
	v_sub_f32_e32 v14, v6, v14
	v_mov_b32_e32 v35, v16
	v_mov_b32_e32 v39, v25
	v_fmac_f32_e32 v40, 0x3f3504f3, v28
	v_sub_f32_e32 v9, v2, v9
	v_fma_f32 v1, v1, 2.0, -v8
	v_sub_f32_e32 v13, v5, v13
	v_fma_f32 v4, v4, 2.0, -v12
	v_fma_f32 v21, v21, 2.0, -v28
	v_sub_f32_e32 v11, v3, v11
	v_fma_f32 v32, v32, 2.0, -v10
	v_add_f32_e32 v27, v18, v27
	v_sub_f32_e32 v15, v7, v15
	v_fma_f32 v6, v6, 2.0, -v14
	v_fmac_f32_e32 v35, 0xbf3504f3, v20
	v_mov_b32_e32 v36, v17
	v_fmac_f32_e32 v39, 0x3f3504f3, v29
	v_fmac_f32_e32 v40, 0xbf3504f3, v29
	v_fma_f32 v2, v2, 2.0, -v9
	v_fma_f32 v5, v5, 2.0, -v13
	;; [unrolled: 1-line block ×3, first 2 shown]
	v_sub_f32_e32 v26, v19, v26
	v_fma_f32 v18, v18, 2.0, -v27
	v_fma_f32 v7, v7, 2.0, -v15
	v_add_f32_e32 v31, v22, v31
	v_sub_f32_e32 v33, v1, v4
	v_fmac_f32_e32 v36, 0xbf3504f3, v21
	v_fmac_f32_e32 v35, 0x3f3504f3, v21
	v_sub_f32_e32 v38, v9, v12
	v_fmac_f32_e32 v39, 0x3f3504f3, v28
	v_fma_f32 v21, v24, 2.0, -v40
	v_sub_f32_e32 v24, v32, v6
	v_fma_f32 v19, v19, 2.0, -v26
	v_sub_f32_e32 v30, v23, v30
	v_fma_f32 v22, v22, 2.0, -v31
	v_sub_f32_e32 v34, v2, v5
	v_fma_f32 v4, v1, 2.0, -v33
	v_fmac_f32_e32 v36, 0xbf3504f3, v20
	v_add_f32_e32 v37, v8, v13
	v_fma_f32 v13, v9, 2.0, -v38
	v_fma_f32 v20, v25, 2.0, -v39
	v_sub_f32_e32 v25, v3, v7
	v_fma_f32 v1, v32, 2.0, -v24
	v_mov_b32_e32 v28, v18
	v_add_f32_e32 v32, v10, v15
	v_sub_f32_e32 v41, v11, v14
	v_mov_b32_e32 v43, v26
	v_fma_f32 v23, v23, 2.0, -v30
	v_fma_f32 v5, v2, 2.0, -v34
	;; [unrolled: 1-line block ×4, first 2 shown]
	v_fmac_f32_e32 v28, 0xbf3504f3, v22
	v_mov_b32_e32 v29, v19
	v_fma_f32 v14, v10, 2.0, -v32
	v_fma_f32 v11, v11, 2.0, -v41
	v_mov_b32_e32 v42, v27
	v_fmac_f32_e32 v43, 0x3f3504f3, v30
	v_mov_b32_e32 v10, v13
	v_fma_f32 v16, v16, 2.0, -v35
	v_fmac_f32_e32 v29, 0xbf3504f3, v23
	v_fmac_f32_e32 v28, 0x3f3504f3, v23
	;; [unrolled: 1-line block ×4, first 2 shown]
	v_sub_f32_e32 v1, v4, v1
	v_sub_f32_e32 v2, v5, v2
	v_mov_b32_e32 v9, v12
	v_fmac_f32_e32 v10, 0xbf3504f3, v11
	v_fma_f32 v17, v17, 2.0, -v36
	v_fmac_f32_e32 v29, 0xbf3504f3, v22
	v_fma_f32 v7, v18, 2.0, -v28
	;; [unrolled: 2-line block ×3, first 2 shown]
	v_fma_f32 v3, v4, 2.0, -v1
	v_fma_f32 v4, v5, 2.0, -v2
	v_mov_b32_e32 v5, v16
	v_fmac_f32_e32 v9, 0xbf3504f3, v14
	v_fmac_f32_e32 v10, 0xbf3504f3, v14
	v_mov_b32_e32 v14, v21
	v_fma_f32 v8, v19, 2.0, -v29
	v_fma_f32 v15, v27, 2.0, -v42
	v_fmac_f32_e32 v5, 0xbf6c835e, v7
	v_mov_b32_e32 v6, v17
	v_fmac_f32_e32 v14, 0xbec3ef15, v18
	v_fmac_f32_e32 v6, 0xbf6c835e, v8
	;; [unrolled: 1-line block ×5, first 2 shown]
	v_fma_f32 v7, v16, 2.0, -v5
	v_fma_f32 v16, v21, 2.0, -v14
	v_mov_b32_e32 v21, v35
	v_fmac_f32_e32 v9, 0x3f3504f3, v11
	v_fmac_f32_e32 v21, 0x3ec3ef15, v28
	v_mov_b32_e32 v22, v36
	v_fma_f32 v8, v17, 2.0, -v6
	v_fma_f32 v11, v12, 2.0, -v9
	;; [unrolled: 1-line block ×3, first 2 shown]
	v_mov_b32_e32 v13, v20
	v_add_f32_e32 v17, v33, v25
	v_fmac_f32_e32 v22, 0x3ec3ef15, v29
	v_fmac_f32_e32 v21, 0x3f6c835e, v29
	v_mov_b32_e32 v25, v37
	v_mov_b32_e32 v26, v38
	;; [unrolled: 1-line block ×4, first 2 shown]
	v_fmac_f32_e32 v13, 0xbec3ef15, v15
	v_fmac_f32_e32 v25, 0x3f3504f3, v32
	;; [unrolled: 1-line block ×6, first 2 shown]
	v_sub_f32_e32 v18, v34, v24
	v_fmac_f32_e32 v22, 0xbf6c835e, v28
	v_fmac_f32_e32 v25, 0x3f3504f3, v41
	;; [unrolled: 1-line block ×5, first 2 shown]
	v_fma_f32 v15, v20, 2.0, -v13
	v_fma_f32 v19, v33, 2.0, -v17
	v_fma_f32 v20, v34, 2.0, -v18
	v_fma_f32 v23, v35, 2.0, -v21
	v_fma_f32 v24, v36, 2.0, -v22
	v_fma_f32 v27, v37, 2.0, -v25
	v_fma_f32 v28, v38, 2.0, -v26
	v_fma_f32 v31, v39, 2.0, -v29
	v_fma_f32 v32, v40, 2.0, -v30
	ds_write2st64_b64 v97, v[3:4], v[7:8] offset1:4
	ds_write2st64_b64 v97, v[11:12], v[15:16] offset0:8 offset1:12
	ds_write2st64_b64 v97, v[19:20], v[23:24] offset0:16 offset1:20
	;; [unrolled: 1-line block ×7, first 2 shown]
	s_waitcnt lgkmcnt(0)
	s_barrier
	ds_read2st64_b64 v[1:4], v97 offset1:4
	s_load_dwordx2 s[2:3], s[4:5], 0x38
	v_mad_u64_u32 v[5:6], s[4:5], s0, v0, 0
	s_waitcnt lgkmcnt(0)
	v_mul_f32_e32 v7, v88, v2
	v_fmac_f32_e32 v7, v87, v1
	v_mul_f32_e32 v7, 0x39800000, v7
	v_mad_u64_u32 v[9:10], s[4:5], s1, v0, v[6:7]
	v_mul_f32_e32 v0, v88, v1
	v_fma_f32 v0, v87, v2, -v0
	v_mul_f32_e32 v8, 0x39800000, v0
	v_lshlrev_b64 v[0:1], 3, v[94:95]
	v_mov_b32_e32 v6, v9
	v_mov_b32_e32 v2, s3
	v_add_co_u32_e32 v9, vcc, s2, v0
	v_addc_co_u32_e32 v2, vcc, v2, v1, vcc
	v_lshlrev_b64 v[0:1], 3, v[5:6]
	s_lshl_b64 s[0:1], s[0:1], 11
	v_add_co_u32_e32 v5, vcc, v9, v0
	v_mul_f32_e32 v0, v86, v4
	v_addc_co_u32_e32 v6, vcc, v2, v1, vcc
	v_fmac_f32_e32 v0, v85, v3
	global_store_dwordx2 v[5:6], v[7:8], off
	v_mul_f32_e32 v7, 0x39800000, v0
	v_mul_f32_e32 v0, v86, v3
	v_fma_f32 v0, v85, v4, -v0
	v_mul_f32_e32 v8, 0x39800000, v0
	ds_read2st64_b64 v[0:3], v97 offset0:8 offset1:12
	v_mov_b32_e32 v9, s1
	v_add_co_u32_e32 v4, vcc, s0, v5
	v_addc_co_u32_e32 v5, vcc, v6, v9, vcc
	s_waitcnt lgkmcnt(0)
	v_mul_f32_e32 v6, v82, v1
	v_fmac_f32_e32 v6, v81, v0
	v_mul_f32_e32 v0, v82, v0
	v_fma_f32 v0, v81, v1, -v0
	global_store_dwordx2 v[4:5], v[7:8], off
	v_mul_f32_e32 v7, 0x39800000, v0
	v_add_co_u32_e32 v4, vcc, s0, v4
	v_mul_f32_e32 v0, v84, v3
	v_mul_f32_e32 v6, 0x39800000, v6
	v_addc_co_u32_e32 v5, vcc, v5, v9, vcc
	v_fmac_f32_e32 v0, v83, v2
	global_store_dwordx2 v[4:5], v[6:7], off
	v_mul_f32_e32 v6, 0x39800000, v0
	v_mul_f32_e32 v0, v84, v2
	v_fma_f32 v0, v83, v3, -v0
	v_mul_f32_e32 v7, 0x39800000, v0
	ds_read2st64_b64 v[0:3], v97 offset0:16 offset1:20
	v_add_co_u32_e32 v4, vcc, s0, v4
	v_addc_co_u32_e32 v5, vcc, v5, v9, vcc
	global_store_dwordx2 v[4:5], v[6:7], off
	s_waitcnt lgkmcnt(0)
	v_mul_f32_e32 v6, v78, v1
	v_fmac_f32_e32 v6, v77, v0
	v_mul_f32_e32 v0, v78, v0
	v_fma_f32 v0, v77, v1, -v0
	v_mul_f32_e32 v7, 0x39800000, v0
	v_add_co_u32_e32 v4, vcc, s0, v4
	v_mul_f32_e32 v0, v80, v3
	v_mul_f32_e32 v6, 0x39800000, v6
	v_addc_co_u32_e32 v5, vcc, v5, v9, vcc
	v_fmac_f32_e32 v0, v79, v2
	global_store_dwordx2 v[4:5], v[6:7], off
	v_mul_f32_e32 v6, 0x39800000, v0
	v_mul_f32_e32 v0, v80, v2
	v_fma_f32 v0, v79, v3, -v0
	v_mul_f32_e32 v7, 0x39800000, v0
	ds_read2st64_b64 v[0:3], v97 offset0:24 offset1:28
	v_add_co_u32_e32 v4, vcc, s0, v4
	v_addc_co_u32_e32 v5, vcc, v5, v9, vcc
	global_store_dwordx2 v[4:5], v[6:7], off
	s_waitcnt lgkmcnt(0)
	v_mul_f32_e32 v6, v74, v1
	v_fmac_f32_e32 v6, v73, v0
	v_mul_f32_e32 v0, v74, v0
	v_fma_f32 v0, v73, v1, -v0
	;; [unrolled: 20-line block ×6, first 2 shown]
	v_mul_f32_e32 v7, 0x39800000, v0
	v_add_co_u32_e32 v0, vcc, s0, v4
	v_mul_f32_e32 v4, v60, v3
	v_mul_f32_e32 v6, 0x39800000, v6
	v_addc_co_u32_e32 v1, vcc, v5, v9, vcc
	v_fmac_f32_e32 v4, v59, v2
	v_mul_f32_e32 v2, v60, v2
	global_store_dwordx2 v[0:1], v[6:7], off
	v_fma_f32 v2, v59, v3, -v2
	v_add_co_u32_e32 v0, vcc, s0, v0
	v_mul_f32_e32 v4, 0x39800000, v4
	v_mul_f32_e32 v5, 0x39800000, v2
	v_addc_co_u32_e32 v1, vcc, v1, v9, vcc
	global_store_dwordx2 v[0:1], v[4:5], off
.LBB0_2:
	s_endpgm
	.section	.rodata,"a",@progbits
	.p2align	6, 0x0
	.amdhsa_kernel bluestein_single_fwd_len4096_dim1_sp_op_CI_CI
		.amdhsa_group_segment_fixed_size 32768
		.amdhsa_private_segment_fixed_size 0
		.amdhsa_kernarg_size 104
		.amdhsa_user_sgpr_count 6
		.amdhsa_user_sgpr_private_segment_buffer 1
		.amdhsa_user_sgpr_dispatch_ptr 0
		.amdhsa_user_sgpr_queue_ptr 0
		.amdhsa_user_sgpr_kernarg_segment_ptr 1
		.amdhsa_user_sgpr_dispatch_id 0
		.amdhsa_user_sgpr_flat_scratch_init 0
		.amdhsa_user_sgpr_private_segment_size 0
		.amdhsa_uses_dynamic_stack 0
		.amdhsa_system_sgpr_private_segment_wavefront_offset 0
		.amdhsa_system_sgpr_workgroup_id_x 1
		.amdhsa_system_sgpr_workgroup_id_y 0
		.amdhsa_system_sgpr_workgroup_id_z 0
		.amdhsa_system_sgpr_workgroup_info 0
		.amdhsa_system_vgpr_workitem_id 0
		.amdhsa_next_free_vgpr 147
		.amdhsa_next_free_sgpr 20
		.amdhsa_reserve_vcc 1
		.amdhsa_reserve_flat_scratch 0
		.amdhsa_float_round_mode_32 0
		.amdhsa_float_round_mode_16_64 0
		.amdhsa_float_denorm_mode_32 3
		.amdhsa_float_denorm_mode_16_64 3
		.amdhsa_dx10_clamp 1
		.amdhsa_ieee_mode 1
		.amdhsa_fp16_overflow 0
		.amdhsa_exception_fp_ieee_invalid_op 0
		.amdhsa_exception_fp_denorm_src 0
		.amdhsa_exception_fp_ieee_div_zero 0
		.amdhsa_exception_fp_ieee_overflow 0
		.amdhsa_exception_fp_ieee_underflow 0
		.amdhsa_exception_fp_ieee_inexact 0
		.amdhsa_exception_int_div_zero 0
	.end_amdhsa_kernel
	.text
.Lfunc_end0:
	.size	bluestein_single_fwd_len4096_dim1_sp_op_CI_CI, .Lfunc_end0-bluestein_single_fwd_len4096_dim1_sp_op_CI_CI
                                        ; -- End function
	.section	.AMDGPU.csdata,"",@progbits
; Kernel info:
; codeLenInByte = 11704
; NumSgprs: 24
; NumVgprs: 147
; ScratchSize: 0
; MemoryBound: 0
; FloatMode: 240
; IeeeMode: 1
; LDSByteSize: 32768 bytes/workgroup (compile time only)
; SGPRBlocks: 2
; VGPRBlocks: 36
; NumSGPRsForWavesPerEU: 24
; NumVGPRsForWavesPerEU: 147
; Occupancy: 1
; WaveLimiterHint : 1
; COMPUTE_PGM_RSRC2:SCRATCH_EN: 0
; COMPUTE_PGM_RSRC2:USER_SGPR: 6
; COMPUTE_PGM_RSRC2:TRAP_HANDLER: 0
; COMPUTE_PGM_RSRC2:TGID_X_EN: 1
; COMPUTE_PGM_RSRC2:TGID_Y_EN: 0
; COMPUTE_PGM_RSRC2:TGID_Z_EN: 0
; COMPUTE_PGM_RSRC2:TIDIG_COMP_CNT: 0
	.type	__hip_cuid_471b87cbdacc4d7e,@object ; @__hip_cuid_471b87cbdacc4d7e
	.section	.bss,"aw",@nobits
	.globl	__hip_cuid_471b87cbdacc4d7e
__hip_cuid_471b87cbdacc4d7e:
	.byte	0                               ; 0x0
	.size	__hip_cuid_471b87cbdacc4d7e, 1

	.ident	"AMD clang version 19.0.0git (https://github.com/RadeonOpenCompute/llvm-project roc-6.4.0 25133 c7fe45cf4b819c5991fe208aaa96edf142730f1d)"
	.section	".note.GNU-stack","",@progbits
	.addrsig
	.addrsig_sym __hip_cuid_471b87cbdacc4d7e
	.amdgpu_metadata
---
amdhsa.kernels:
  - .args:
      - .actual_access:  read_only
        .address_space:  global
        .offset:         0
        .size:           8
        .value_kind:     global_buffer
      - .actual_access:  read_only
        .address_space:  global
        .offset:         8
        .size:           8
        .value_kind:     global_buffer
      - .actual_access:  read_only
        .address_space:  global
        .offset:         16
        .size:           8
        .value_kind:     global_buffer
      - .actual_access:  read_only
        .address_space:  global
        .offset:         24
        .size:           8
        .value_kind:     global_buffer
      - .actual_access:  read_only
        .address_space:  global
        .offset:         32
        .size:           8
        .value_kind:     global_buffer
      - .offset:         40
        .size:           8
        .value_kind:     by_value
      - .address_space:  global
        .offset:         48
        .size:           8
        .value_kind:     global_buffer
      - .address_space:  global
        .offset:         56
        .size:           8
        .value_kind:     global_buffer
      - .address_space:  global
        .offset:         64
        .size:           8
        .value_kind:     global_buffer
      - .address_space:  global
        .offset:         72
        .size:           8
        .value_kind:     global_buffer
      - .offset:         80
        .size:           4
        .value_kind:     by_value
      - .address_space:  global
        .offset:         88
        .size:           8
        .value_kind:     global_buffer
      - .address_space:  global
        .offset:         96
        .size:           8
        .value_kind:     global_buffer
    .group_segment_fixed_size: 32768
    .kernarg_segment_align: 8
    .kernarg_segment_size: 104
    .language:       OpenCL C
    .language_version:
      - 2
      - 0
    .max_flat_workgroup_size: 256
    .name:           bluestein_single_fwd_len4096_dim1_sp_op_CI_CI
    .private_segment_fixed_size: 0
    .sgpr_count:     24
    .sgpr_spill_count: 0
    .symbol:         bluestein_single_fwd_len4096_dim1_sp_op_CI_CI.kd
    .uniform_work_group_size: 1
    .uses_dynamic_stack: false
    .vgpr_count:     147
    .vgpr_spill_count: 0
    .wavefront_size: 64
amdhsa.target:   amdgcn-amd-amdhsa--gfx906
amdhsa.version:
  - 1
  - 2
...

	.end_amdgpu_metadata
